;; amdgpu-corpus repo=llvm/llvm-project kind=harvested arch=n/a opt=n/a
// RUN: not llvm-mc -triple=amdgcn -mcpu=gfx900 %s -filetype=null 2>&1 | FileCheck -check-prefix=GFX9 --implicit-check-not=error: %s
// RUN: not llvm-mc -triple=amdgcn -mcpu=gfx1010 %s -filetype=null 2>&1 | FileCheck -check-prefix=GFX10 --implicit-check-not=error: %s

v_pk_add_f16 v1, -17, v2
// GFX9: :[[@LINE-1]]:{{[0-9]+}}: error: literal operands are not supported

v_pk_add_f16 v1, 65, v2
// GFX9: :[[@LINE-1]]:{{[0-9]+}}: error: literal operands are not supported

v_pk_add_f16 v1, 64.0, v2
// GFX9: :[[@LINE-1]]:{{[0-9]+}}: error: literal operands are not supported

v_pk_add_f16 v1, -0.15915494, v2
// GFX9: :[[@LINE-1]]:{{[0-9]+}}: error: literal operands are not supported

v_pk_add_f16 v1, -0.0, v2
// GFX9: :[[@LINE-1]]:{{[0-9]+}}: error: literal operands are not supported

v_pk_add_f16 v1, -32768, v2
// GFX9: :[[@LINE-1]]:{{[0-9]+}}: error: literal operands are not supported

v_pk_add_f16 v1, 32767, v2
// GFX9: :[[@LINE-1]]:{{[0-9]+}}: error: literal operands are not supported

v_pk_add_f16 v1, 0xffffffffffff000f, v2
	;; [unrolled: 3-line block ×3, first 2 shown]
// GFX9: :[[@LINE-1]]:{{[0-9]+}}: error: literal operands are not supported

v_pk_mad_i16 v5, 0x3c00, 0x4000, 0x4400
// GFX9: :[[@LINE-1]]:{{[0-9]+}}: error: literal operands are not supported
// GFX10: :[[@LINE-2]]:{{[0-9]+}}: error: only one unique literal operand is allowed

v_pk_mad_i16 v5, 0x3c00, 0x4000, 2
// GFX9: :[[@LINE-1]]:{{[0-9]+}}: error: literal operands are not supported
// GFX10: :[[@LINE-2]]:{{[0-9]+}}: error: only one unique literal operand is allowed

v_pk_mad_i16 v5, 0x3c00, 3, 2
// GFX9: :[[@LINE-1]]:{{[0-9]+}}: error: literal operands are not supported

v_pk_mad_i16 v5, 3, 0x3c00, 2
// GFX9: :[[@LINE-1]]:{{[0-9]+}}: error: literal operands are not supported
	;; [unrolled: 3-line block ×3, first 2 shown]
